;; amdgpu-corpus repo=ROCm/rocFFT kind=compiled arch=gfx1201 opt=O3
	.text
	.amdgcn_target "amdgcn-amd-amdhsa--gfx1201"
	.amdhsa_code_object_version 6
	.protected	fft_rtc_fwd_len352_factors_11_2_16_wgs_64_tpt_32_sp_op_CI_CI_unitstride_sbrr_C2R_dirReg ; -- Begin function fft_rtc_fwd_len352_factors_11_2_16_wgs_64_tpt_32_sp_op_CI_CI_unitstride_sbrr_C2R_dirReg
	.globl	fft_rtc_fwd_len352_factors_11_2_16_wgs_64_tpt_32_sp_op_CI_CI_unitstride_sbrr_C2R_dirReg
	.p2align	8
	.type	fft_rtc_fwd_len352_factors_11_2_16_wgs_64_tpt_32_sp_op_CI_CI_unitstride_sbrr_C2R_dirReg,@function
fft_rtc_fwd_len352_factors_11_2_16_wgs_64_tpt_32_sp_op_CI_CI_unitstride_sbrr_C2R_dirReg: ; @fft_rtc_fwd_len352_factors_11_2_16_wgs_64_tpt_32_sp_op_CI_CI_unitstride_sbrr_C2R_dirReg
; %bb.0:
	s_clause 0x2
	s_load_b128 s[8:11], s[0:1], 0x0
	s_load_b128 s[4:7], s[0:1], 0x58
	;; [unrolled: 1-line block ×3, first 2 shown]
	v_lshrrev_b32_e32 v1, 5, v0
	v_mov_b32_e32 v3, 0
	s_delay_alu instid0(VALU_DEP_2) | instskip(SKIP_2) | instid1(VALU_DEP_4)
	v_lshl_or_b32 v5, ttmp9, 1, v1
	v_mov_b32_e32 v1, 0
	v_mov_b32_e32 v2, 0
	;; [unrolled: 1-line block ×3, first 2 shown]
	s_wait_kmcnt 0x0
	v_cmp_lt_u64_e64 s2, s[10:11], 2
	s_delay_alu instid0(VALU_DEP_1)
	s_and_b32 vcc_lo, exec_lo, s2
	s_cbranch_vccnz .LBB0_8
; %bb.1:
	s_load_b64 s[2:3], s[0:1], 0x10
	v_mov_b32_e32 v1, 0
	v_mov_b32_e32 v2, 0
	s_add_nc_u64 s[16:17], s[14:15], 8
	s_add_nc_u64 s[18:19], s[12:13], 8
	s_mov_b64 s[20:21], 1
	s_delay_alu instid0(VALU_DEP_1)
	v_dual_mov_b32 v31, v2 :: v_dual_mov_b32 v30, v1
	s_wait_kmcnt 0x0
	s_add_nc_u64 s[22:23], s[2:3], 8
	s_mov_b32 s3, 0
.LBB0_2:                                ; =>This Inner Loop Header: Depth=1
	s_load_b64 s[24:25], s[22:23], 0x0
                                        ; implicit-def: $vgpr34_vgpr35
	s_mov_b32 s2, exec_lo
	s_wait_kmcnt 0x0
	v_or_b32_e32 v4, s25, v6
	s_delay_alu instid0(VALU_DEP_1)
	v_cmpx_ne_u64_e32 0, v[3:4]
	s_wait_alu 0xfffe
	s_xor_b32 s26, exec_lo, s2
	s_cbranch_execz .LBB0_4
; %bb.3:                                ;   in Loop: Header=BB0_2 Depth=1
	s_cvt_f32_u32 s2, s24
	s_cvt_f32_u32 s27, s25
	s_sub_nc_u64 s[30:31], 0, s[24:25]
	s_wait_alu 0xfffe
	s_delay_alu instid0(SALU_CYCLE_1) | instskip(SKIP_1) | instid1(SALU_CYCLE_2)
	s_fmamk_f32 s2, s27, 0x4f800000, s2
	s_wait_alu 0xfffe
	v_s_rcp_f32 s2, s2
	s_delay_alu instid0(TRANS32_DEP_1) | instskip(SKIP_1) | instid1(SALU_CYCLE_2)
	s_mul_f32 s2, s2, 0x5f7ffffc
	s_wait_alu 0xfffe
	s_mul_f32 s27, s2, 0x2f800000
	s_wait_alu 0xfffe
	s_delay_alu instid0(SALU_CYCLE_2) | instskip(SKIP_1) | instid1(SALU_CYCLE_2)
	s_trunc_f32 s27, s27
	s_wait_alu 0xfffe
	s_fmamk_f32 s2, s27, 0xcf800000, s2
	s_cvt_u32_f32 s29, s27
	s_wait_alu 0xfffe
	s_delay_alu instid0(SALU_CYCLE_1) | instskip(SKIP_1) | instid1(SALU_CYCLE_2)
	s_cvt_u32_f32 s28, s2
	s_wait_alu 0xfffe
	s_mul_u64 s[34:35], s[30:31], s[28:29]
	s_wait_alu 0xfffe
	s_mul_hi_u32 s37, s28, s35
	s_mul_i32 s36, s28, s35
	s_mul_hi_u32 s2, s28, s34
	s_mul_i32 s33, s29, s34
	s_wait_alu 0xfffe
	s_add_nc_u64 s[36:37], s[2:3], s[36:37]
	s_mul_hi_u32 s27, s29, s34
	s_mul_hi_u32 s38, s29, s35
	s_add_co_u32 s2, s36, s33
	s_wait_alu 0xfffe
	s_add_co_ci_u32 s2, s37, s27
	s_mul_i32 s34, s29, s35
	s_add_co_ci_u32 s35, s38, 0
	s_wait_alu 0xfffe
	s_add_nc_u64 s[34:35], s[2:3], s[34:35]
	s_wait_alu 0xfffe
	v_add_co_u32 v4, s2, s28, s34
	s_delay_alu instid0(VALU_DEP_1) | instskip(SKIP_1) | instid1(VALU_DEP_1)
	s_cmp_lg_u32 s2, 0
	s_add_co_ci_u32 s29, s29, s35
	v_readfirstlane_b32 s28, v4
	s_wait_alu 0xfffe
	s_delay_alu instid0(VALU_DEP_1)
	s_mul_u64 s[30:31], s[30:31], s[28:29]
	s_wait_alu 0xfffe
	s_mul_hi_u32 s35, s28, s31
	s_mul_i32 s34, s28, s31
	s_mul_hi_u32 s2, s28, s30
	s_mul_i32 s33, s29, s30
	s_wait_alu 0xfffe
	s_add_nc_u64 s[34:35], s[2:3], s[34:35]
	s_mul_hi_u32 s27, s29, s30
	s_mul_hi_u32 s28, s29, s31
	s_wait_alu 0xfffe
	s_add_co_u32 s2, s34, s33
	s_add_co_ci_u32 s2, s35, s27
	s_mul_i32 s30, s29, s31
	s_add_co_ci_u32 s31, s28, 0
	s_wait_alu 0xfffe
	s_add_nc_u64 s[30:31], s[2:3], s[30:31]
	s_wait_alu 0xfffe
	v_add_co_u32 v4, s2, v4, s30
	s_delay_alu instid0(VALU_DEP_1) | instskip(SKIP_1) | instid1(VALU_DEP_1)
	s_cmp_lg_u32 s2, 0
	s_add_co_ci_u32 s2, s29, s31
	v_mul_hi_u32 v13, v5, v4
	s_wait_alu 0xfffe
	v_mad_co_u64_u32 v[7:8], null, v5, s2, 0
	v_mad_co_u64_u32 v[9:10], null, v6, v4, 0
	;; [unrolled: 1-line block ×3, first 2 shown]
	s_delay_alu instid0(VALU_DEP_3) | instskip(SKIP_1) | instid1(VALU_DEP_4)
	v_add_co_u32 v4, vcc_lo, v13, v7
	s_wait_alu 0xfffd
	v_add_co_ci_u32_e32 v7, vcc_lo, 0, v8, vcc_lo
	s_delay_alu instid0(VALU_DEP_2) | instskip(SKIP_1) | instid1(VALU_DEP_2)
	v_add_co_u32 v4, vcc_lo, v4, v9
	s_wait_alu 0xfffd
	v_add_co_ci_u32_e32 v4, vcc_lo, v7, v10, vcc_lo
	s_wait_alu 0xfffd
	v_add_co_ci_u32_e32 v7, vcc_lo, 0, v12, vcc_lo
	s_delay_alu instid0(VALU_DEP_2) | instskip(SKIP_1) | instid1(VALU_DEP_2)
	v_add_co_u32 v4, vcc_lo, v4, v11
	s_wait_alu 0xfffd
	v_add_co_ci_u32_e32 v9, vcc_lo, 0, v7, vcc_lo
	s_delay_alu instid0(VALU_DEP_2) | instskip(SKIP_1) | instid1(VALU_DEP_3)
	v_mul_lo_u32 v10, s25, v4
	v_mad_co_u64_u32 v[7:8], null, s24, v4, 0
	v_mul_lo_u32 v11, s24, v9
	s_delay_alu instid0(VALU_DEP_2) | instskip(NEXT) | instid1(VALU_DEP_2)
	v_sub_co_u32 v7, vcc_lo, v5, v7
	v_add3_u32 v8, v8, v11, v10
	s_delay_alu instid0(VALU_DEP_1) | instskip(SKIP_1) | instid1(VALU_DEP_1)
	v_sub_nc_u32_e32 v10, v6, v8
	s_wait_alu 0xfffd
	v_subrev_co_ci_u32_e64 v10, s2, s25, v10, vcc_lo
	v_add_co_u32 v11, s2, v4, 2
	s_wait_alu 0xf1ff
	v_add_co_ci_u32_e64 v12, s2, 0, v9, s2
	v_sub_co_u32 v13, s2, v7, s24
	v_sub_co_ci_u32_e32 v8, vcc_lo, v6, v8, vcc_lo
	s_wait_alu 0xf1ff
	v_subrev_co_ci_u32_e64 v10, s2, 0, v10, s2
	s_delay_alu instid0(VALU_DEP_3) | instskip(NEXT) | instid1(VALU_DEP_3)
	v_cmp_le_u32_e32 vcc_lo, s24, v13
	v_cmp_eq_u32_e64 s2, s25, v8
	s_wait_alu 0xfffd
	v_cndmask_b32_e64 v13, 0, -1, vcc_lo
	v_cmp_le_u32_e32 vcc_lo, s25, v10
	s_wait_alu 0xfffd
	v_cndmask_b32_e64 v14, 0, -1, vcc_lo
	v_cmp_le_u32_e32 vcc_lo, s24, v7
	;; [unrolled: 3-line block ×3, first 2 shown]
	s_wait_alu 0xfffd
	v_cndmask_b32_e64 v15, 0, -1, vcc_lo
	v_cmp_eq_u32_e32 vcc_lo, s25, v10
	s_wait_alu 0xf1ff
	s_delay_alu instid0(VALU_DEP_2)
	v_cndmask_b32_e64 v7, v15, v7, s2
	s_wait_alu 0xfffd
	v_cndmask_b32_e32 v10, v14, v13, vcc_lo
	v_add_co_u32 v13, vcc_lo, v4, 1
	s_wait_alu 0xfffd
	v_add_co_ci_u32_e32 v14, vcc_lo, 0, v9, vcc_lo
	s_delay_alu instid0(VALU_DEP_3) | instskip(SKIP_1) | instid1(VALU_DEP_2)
	v_cmp_ne_u32_e32 vcc_lo, 0, v10
	s_wait_alu 0xfffd
	v_cndmask_b32_e32 v8, v14, v12, vcc_lo
	v_cndmask_b32_e32 v10, v13, v11, vcc_lo
	v_cmp_ne_u32_e32 vcc_lo, 0, v7
	s_wait_alu 0xfffd
	s_delay_alu instid0(VALU_DEP_2)
	v_dual_cndmask_b32 v35, v9, v8 :: v_dual_cndmask_b32 v34, v4, v10
.LBB0_4:                                ;   in Loop: Header=BB0_2 Depth=1
	s_wait_alu 0xfffe
	s_and_not1_saveexec_b32 s2, s26
	s_cbranch_execz .LBB0_6
; %bb.5:                                ;   in Loop: Header=BB0_2 Depth=1
	v_cvt_f32_u32_e32 v4, s24
	s_sub_co_i32 s26, 0, s24
	v_mov_b32_e32 v35, v3
	s_delay_alu instid0(VALU_DEP_2) | instskip(NEXT) | instid1(TRANS32_DEP_1)
	v_rcp_iflag_f32_e32 v4, v4
	v_mul_f32_e32 v4, 0x4f7ffffe, v4
	s_delay_alu instid0(VALU_DEP_1) | instskip(SKIP_1) | instid1(VALU_DEP_1)
	v_cvt_u32_f32_e32 v4, v4
	s_wait_alu 0xfffe
	v_mul_lo_u32 v7, s26, v4
	s_delay_alu instid0(VALU_DEP_1) | instskip(NEXT) | instid1(VALU_DEP_1)
	v_mul_hi_u32 v7, v4, v7
	v_add_nc_u32_e32 v4, v4, v7
	s_delay_alu instid0(VALU_DEP_1) | instskip(NEXT) | instid1(VALU_DEP_1)
	v_mul_hi_u32 v4, v5, v4
	v_mul_lo_u32 v7, v4, s24
	v_add_nc_u32_e32 v8, 1, v4
	s_delay_alu instid0(VALU_DEP_2) | instskip(NEXT) | instid1(VALU_DEP_1)
	v_sub_nc_u32_e32 v7, v5, v7
	v_subrev_nc_u32_e32 v9, s24, v7
	v_cmp_le_u32_e32 vcc_lo, s24, v7
	s_wait_alu 0xfffd
	s_delay_alu instid0(VALU_DEP_2) | instskip(NEXT) | instid1(VALU_DEP_1)
	v_dual_cndmask_b32 v7, v7, v9 :: v_dual_cndmask_b32 v4, v4, v8
	v_cmp_le_u32_e32 vcc_lo, s24, v7
	s_delay_alu instid0(VALU_DEP_2) | instskip(SKIP_1) | instid1(VALU_DEP_1)
	v_add_nc_u32_e32 v8, 1, v4
	s_wait_alu 0xfffd
	v_cndmask_b32_e32 v34, v4, v8, vcc_lo
.LBB0_6:                                ;   in Loop: Header=BB0_2 Depth=1
	s_wait_alu 0xfffe
	s_or_b32 exec_lo, exec_lo, s2
	v_mul_lo_u32 v4, v35, s24
	s_delay_alu instid0(VALU_DEP_2)
	v_mul_lo_u32 v9, v34, s25
	s_load_b64 s[26:27], s[18:19], 0x0
	v_mad_co_u64_u32 v[7:8], null, v34, s24, 0
	s_load_b64 s[24:25], s[16:17], 0x0
	s_add_nc_u64 s[20:21], s[20:21], 1
	s_add_nc_u64 s[16:17], s[16:17], 8
	s_wait_alu 0xfffe
	v_cmp_ge_u64_e64 s2, s[20:21], s[10:11]
	s_add_nc_u64 s[18:19], s[18:19], 8
	s_add_nc_u64 s[22:23], s[22:23], 8
	v_add3_u32 v4, v8, v9, v4
	v_sub_co_u32 v5, vcc_lo, v5, v7
	s_wait_alu 0xfffd
	s_delay_alu instid0(VALU_DEP_2) | instskip(SKIP_2) | instid1(VALU_DEP_1)
	v_sub_co_ci_u32_e32 v4, vcc_lo, v6, v4, vcc_lo
	s_and_b32 vcc_lo, exec_lo, s2
	s_wait_kmcnt 0x0
	v_mul_lo_u32 v6, s26, v4
	v_mul_lo_u32 v7, s27, v5
	v_mad_co_u64_u32 v[1:2], null, s26, v5, v[1:2]
	v_mul_lo_u32 v4, s24, v4
	v_mul_lo_u32 v8, s25, v5
	v_mad_co_u64_u32 v[30:31], null, s24, v5, v[30:31]
	s_delay_alu instid0(VALU_DEP_4) | instskip(NEXT) | instid1(VALU_DEP_2)
	v_add3_u32 v2, v7, v2, v6
	v_add3_u32 v31, v8, v31, v4
	s_wait_alu 0xfffe
	s_cbranch_vccnz .LBB0_9
; %bb.7:                                ;   in Loop: Header=BB0_2 Depth=1
	v_dual_mov_b32 v5, v34 :: v_dual_mov_b32 v6, v35
	s_branch .LBB0_2
.LBB0_8:
	v_dual_mov_b32 v31, v2 :: v_dual_mov_b32 v30, v1
	v_dual_mov_b32 v35, v6 :: v_dual_mov_b32 v34, v5
.LBB0_9:
	s_load_b64 s[2:3], s[0:1], 0x28
	v_and_b32_e32 v3, 32, v0
	v_and_b32_e32 v32, 31, v0
	s_lshl_b64 s[10:11], s[10:11], 3
	s_delay_alu instid0(VALU_DEP_2)
	v_cmp_ne_u32_e64 s0, 0, v3
	s_wait_kmcnt 0x0
	v_cmp_gt_u64_e32 vcc_lo, s[2:3], v[34:35]
	v_cmp_le_u64_e64 s1, s[2:3], v[34:35]
	s_wait_alu 0xfffe
	s_add_nc_u64 s[2:3], s[14:15], s[10:11]
	s_delay_alu instid0(VALU_DEP_1) | instskip(NEXT) | instid1(SALU_CYCLE_1)
	s_and_saveexec_b32 s14, s1
	s_xor_b32 s1, exec_lo, s14
; %bb.10:
	v_and_b32_e32 v32, 31, v0
                                        ; implicit-def: $vgpr1_vgpr2
; %bb.11:
	s_wait_alu 0xfffe
	s_or_saveexec_b32 s1, s1
	s_load_b64 s[2:3], s[2:3], 0x0
	v_cndmask_b32_e64 v3, 0, 0x161, s0
	s_delay_alu instid0(VALU_DEP_1)
	v_lshlrev_b32_e32 v18, 3, v3
	s_xor_b32 exec_lo, exec_lo, s1
	s_cbranch_execz .LBB0_15
; %bb.12:
	s_add_nc_u64 s[10:11], s[12:13], s[10:11]
	v_lshlrev_b32_e32 v27, 3, v32
	s_load_b64 s[10:11], s[10:11], 0x0
	s_wait_kmcnt 0x0
	v_mul_lo_u32 v0, s11, v34
	v_mul_lo_u32 v6, s10, v35
	v_mad_co_u64_u32 v[4:5], null, s10, v34, 0
	s_delay_alu instid0(VALU_DEP_1) | instskip(SKIP_1) | instid1(VALU_DEP_2)
	v_add3_u32 v5, v5, v6, v0
	v_lshlrev_b64_e32 v[0:1], 3, v[1:2]
	v_lshlrev_b64_e32 v[4:5], 3, v[4:5]
	s_delay_alu instid0(VALU_DEP_1) | instskip(SKIP_1) | instid1(VALU_DEP_2)
	v_add_co_u32 v2, s0, s4, v4
	s_wait_alu 0xf1ff
	v_add_co_ci_u32_e64 v4, s0, s5, v5, s0
	s_mov_b32 s4, exec_lo
	s_delay_alu instid0(VALU_DEP_2) | instskip(SKIP_1) | instid1(VALU_DEP_2)
	v_add_co_u32 v0, s0, v2, v0
	s_wait_alu 0xf1ff
	v_add_co_ci_u32_e64 v1, s0, v4, v1, s0
	v_add3_u32 v2, 0, v18, v27
	s_delay_alu instid0(VALU_DEP_3) | instskip(SKIP_1) | instid1(VALU_DEP_3)
	v_add_co_u32 v4, s0, v0, v27
	s_wait_alu 0xf1ff
	v_add_co_ci_u32_e64 v5, s0, 0, v1, s0
	s_delay_alu instid0(VALU_DEP_3)
	v_add_nc_u32_e32 v27, 0x800, v2
	s_clause 0xa
	global_load_b64 v[6:7], v[4:5], off
	global_load_b64 v[8:9], v[4:5], off offset:256
	global_load_b64 v[10:11], v[4:5], off offset:512
	global_load_b64 v[12:13], v[4:5], off offset:768
	global_load_b64 v[14:15], v[4:5], off offset:1024
	global_load_b64 v[16:17], v[4:5], off offset:1280
	global_load_b64 v[19:20], v[4:5], off offset:1536
	global_load_b64 v[21:22], v[4:5], off offset:1792
	global_load_b64 v[23:24], v[4:5], off offset:2048
	global_load_b64 v[25:26], v[4:5], off offset:2304
	global_load_b64 v[4:5], v[4:5], off offset:2560
	s_wait_loadcnt 0x9
	ds_store_2addr_b64 v2, v[6:7], v[8:9] offset1:32
	s_wait_loadcnt 0x7
	ds_store_2addr_b64 v2, v[10:11], v[12:13] offset0:64 offset1:96
	s_wait_loadcnt 0x5
	ds_store_2addr_b64 v2, v[14:15], v[16:17] offset0:128 offset1:160
	;; [unrolled: 2-line block ×3, first 2 shown]
	s_wait_loadcnt 0x1
	ds_store_2addr_b64 v27, v[23:24], v[25:26] offset1:32
	s_wait_loadcnt 0x0
	ds_store_b64 v2, v[4:5] offset:2560
	v_cmpx_eq_u32_e32 31, v32
	s_cbranch_execz .LBB0_14
; %bb.13:
	global_load_b64 v[0:1], v[0:1], off offset:2816
	v_mov_b32_e32 v32, 31
	s_wait_loadcnt 0x0
	ds_store_b64 v2, v[0:1] offset:2568
.LBB0_14:
	s_wait_alu 0xfffe
	s_or_b32 exec_lo, exec_lo, s4
.LBB0_15:
	s_delay_alu instid0(SALU_CYCLE_1)
	s_or_b32 exec_lo, exec_lo, s1
	v_lshl_add_u32 v38, v3, 3, 0
	v_lshlrev_b32_e32 v4, 3, v32
	global_wb scope:SCOPE_SE
	s_wait_dscnt 0x0
	s_wait_kmcnt 0x0
	s_barrier_signal -1
	s_barrier_wait -1
	global_inv scope:SCOPE_SE
	v_add_nc_u32_e32 v39, v38, v4
	v_sub_nc_u32_e32 v5, v38, v4
	s_mov_b32 s1, exec_lo
                                        ; implicit-def: $vgpr0_vgpr1
	ds_load_b32 v6, v39
	ds_load_b32 v7, v5 offset:2816
	s_wait_dscnt 0x0
	v_dual_add_f32 v2, v7, v6 :: v_dual_sub_f32 v3, v6, v7
	v_cmpx_ne_u32_e32 0, v32
	s_wait_alu 0xfffe
	s_xor_b32 s1, exec_lo, s1
	s_cbranch_execz .LBB0_17
; %bb.16:
	v_dual_mov_b32 v33, 0 :: v_dual_add_f32 v8, v7, v6
	s_delay_alu instid0(VALU_DEP_1) | instskip(NEXT) | instid1(VALU_DEP_1)
	v_lshlrev_b64_e32 v[0:1], 3, v[32:33]
	v_add_co_u32 v0, s0, s8, v0
	s_wait_alu 0xf1ff
	s_delay_alu instid0(VALU_DEP_2)
	v_add_co_ci_u32_e64 v1, s0, s9, v1, s0
	global_load_b64 v[0:1], v[0:1], off offset:2728
	ds_load_b32 v2, v5 offset:2820
	ds_load_b32 v3, v39 offset:4
	v_sub_f32_e32 v9, v6, v7
	s_wait_dscnt 0x0
	v_add_f32_e32 v10, v2, v3
	v_sub_f32_e32 v2, v3, v2
	s_wait_loadcnt 0x0
	s_delay_alu instid0(VALU_DEP_1) | instskip(SKIP_2) | instid1(VALU_DEP_3)
	v_fma_f32 v3, v10, v1, v2
	v_fma_f32 v6, -v9, v1, v8
	v_fma_f32 v11, v9, v1, v8
	v_fmac_f32_e32 v3, v9, v0
	v_fma_f32 v7, v10, v1, -v2
	s_delay_alu instid0(VALU_DEP_4) | instskip(NEXT) | instid1(VALU_DEP_4)
	v_fmac_f32_e32 v6, v0, v10
	v_fma_f32 v2, -v0, v10, v11
	s_delay_alu instid0(VALU_DEP_3)
	v_dual_fmac_f32 v7, v9, v0 :: v_dual_mov_b32 v0, v32
	v_mov_b32_e32 v1, v33
	ds_store_b64 v5, v[6:7] offset:2816
.LBB0_17:
	s_wait_alu 0xfffe
	s_and_not1_saveexec_b32 s0, s1
	s_cbranch_execz .LBB0_19
; %bb.18:
	ds_load_b64 v[0:1], v38 offset:1408
	s_wait_dscnt 0x0
	v_dual_add_f32 v6, v0, v0 :: v_dual_mul_f32 v7, -2.0, v1
	v_mov_b32_e32 v0, 0
	v_mov_b32_e32 v1, 0
	ds_store_b64 v38, v[6:7] offset:1408
.LBB0_19:
	s_wait_alu 0xfffe
	s_or_b32 exec_lo, exec_lo, s0
	v_lshlrev_b64_e32 v[0:1], 3, v[0:1]
	s_add_nc_u64 s[0:1], s[8:9], 0xaa8
	s_wait_alu 0xfffe
	s_delay_alu instid0(VALU_DEP_1) | instskip(SKIP_1) | instid1(VALU_DEP_2)
	v_add_co_u32 v0, s0, s0, v0
	s_wait_alu 0xf1ff
	v_add_co_ci_u32_e64 v1, s0, s1, v1, s0
	s_mov_b32 s1, exec_lo
	s_clause 0x3
	global_load_b64 v[6:7], v[0:1], off offset:256
	global_load_b64 v[8:9], v[0:1], off offset:512
	;; [unrolled: 1-line block ×4, first 2 shown]
	ds_store_b64 v39, v[2:3]
	ds_load_b64 v[2:3], v39 offset:256
	ds_load_b64 v[15:16], v5 offset:2560
	s_wait_dscnt 0x0
	v_add_f32_e32 v17, v16, v3
	v_sub_f32_e32 v19, v2, v15
	v_add_f32_e32 v12, v2, v15
	v_sub_f32_e32 v2, v3, v16
	s_wait_loadcnt 0x3
	s_delay_alu instid0(VALU_DEP_1) | instskip(SKIP_1) | instid1(VALU_DEP_2)
	v_fma_f32 v3, v17, v7, v2
	v_fma_f32 v16, v17, v7, -v2
	v_fmac_f32_e32 v3, v19, v6
	v_fma_f32 v20, v19, v7, v12
	v_fma_f32 v15, -v19, v7, v12
	s_delay_alu instid0(VALU_DEP_4) | instskip(NEXT) | instid1(VALU_DEP_3)
	v_fmac_f32_e32 v16, v19, v6
	v_fma_f32 v2, -v6, v17, v20
	s_delay_alu instid0(VALU_DEP_3)
	v_fmac_f32_e32 v15, v6, v17
	ds_store_b64 v39, v[2:3] offset:256
	ds_store_b64 v5, v[15:16] offset:2560
	ds_load_b64 v[2:3], v39 offset:512
	ds_load_b64 v[6:7], v5 offset:2304
	s_wait_dscnt 0x0
	v_dual_add_f32 v12, v2, v6 :: v_dual_add_f32 v15, v7, v3
	v_sub_f32_e32 v16, v2, v6
	v_sub_f32_e32 v2, v3, v7
	s_wait_loadcnt 0x2
	s_delay_alu instid0(VALU_DEP_2) | instskip(NEXT) | instid1(VALU_DEP_2)
	v_fma_f32 v17, v16, v9, v12
	v_fma_f32 v3, v15, v9, v2
	v_fma_f32 v6, -v16, v9, v12
	s_delay_alu instid0(VALU_DEP_2) | instskip(SKIP_2) | instid1(VALU_DEP_4)
	v_fmac_f32_e32 v3, v16, v8
	v_fma_f32 v7, v15, v9, -v2
	v_fma_f32 v2, -v8, v15, v17
	v_fmac_f32_e32 v6, v8, v15
	s_delay_alu instid0(VALU_DEP_3)
	v_fmac_f32_e32 v7, v16, v8
	ds_store_b64 v39, v[2:3] offset:512
	ds_store_b64 v5, v[6:7] offset:2304
	ds_load_b64 v[2:3], v39 offset:768
	ds_load_b64 v[6:7], v5 offset:2048
	s_wait_dscnt 0x0
	v_dual_add_f32 v8, v2, v6 :: v_dual_add_f32 v9, v7, v3
	v_sub_f32_e32 v12, v2, v6
	v_sub_f32_e32 v2, v3, v7
	s_wait_loadcnt 0x1
	s_delay_alu instid0(VALU_DEP_2) | instskip(NEXT) | instid1(VALU_DEP_2)
	v_fma_f32 v15, v12, v11, v8
	v_fma_f32 v3, v9, v11, v2
	v_fma_f32 v6, -v12, v11, v8
	s_delay_alu instid0(VALU_DEP_2) | instskip(SKIP_2) | instid1(VALU_DEP_2)
	v_fmac_f32_e32 v3, v12, v10
	v_fma_f32 v7, v9, v11, -v2
	v_fma_f32 v2, -v10, v9, v15
	v_dual_fmac_f32 v6, v10, v9 :: v_dual_fmac_f32 v7, v12, v10
	ds_store_b64 v39, v[2:3] offset:768
	ds_store_b64 v5, v[6:7] offset:2048
	ds_load_b64 v[2:3], v39 offset:1024
	ds_load_b64 v[6:7], v5 offset:1792
	v_or_b32_e32 v12, 0xa0, v32
	s_wait_dscnt 0x0
	v_dual_add_f32 v8, v2, v6 :: v_dual_add_f32 v9, v7, v3
	v_sub_f32_e32 v10, v2, v6
	v_sub_f32_e32 v2, v3, v7
	s_wait_loadcnt 0x0
	s_delay_alu instid0(VALU_DEP_2) | instskip(NEXT) | instid1(VALU_DEP_2)
	v_fma_f32 v11, v10, v14, v8
	v_fma_f32 v7, v9, v14, -v2
	v_fma_f32 v6, -v10, v14, v8
	s_delay_alu instid0(VALU_DEP_2) | instskip(SKIP_2) | instid1(VALU_DEP_4)
	v_fmac_f32_e32 v7, v10, v13
	v_fma_f32 v3, v9, v14, v2
	v_fma_f32 v2, -v13, v9, v11
	v_fmac_f32_e32 v6, v13, v9
	s_delay_alu instid0(VALU_DEP_3)
	v_fmac_f32_e32 v3, v10, v13
	ds_store_b64 v39, v[2:3] offset:1024
	ds_store_b64 v5, v[6:7] offset:1792
	v_cmpx_gt_u32_e32 0xb0, v12
	s_cbranch_execz .LBB0_21
; %bb.20:
	global_load_b64 v[0:1], v[0:1], off offset:1280
	ds_load_b64 v[2:3], v39 offset:1280
	ds_load_b64 v[6:7], v5 offset:1536
	s_wait_dscnt 0x0
	v_dual_add_f32 v8, v2, v6 :: v_dual_add_f32 v9, v7, v3
	v_dual_sub_f32 v10, v2, v6 :: v_dual_sub_f32 v3, v3, v7
	s_wait_loadcnt 0x0
	s_delay_alu instid0(VALU_DEP_1) | instskip(NEXT) | instid1(VALU_DEP_2)
	v_fma_f32 v11, v10, v1, v8
	v_fma_f32 v2, v9, v1, v3
	v_fma_f32 v6, -v10, v1, v8
	v_fma_f32 v7, v9, v1, -v3
	s_delay_alu instid0(VALU_DEP_4) | instskip(NEXT) | instid1(VALU_DEP_4)
	v_fma_f32 v1, -v0, v9, v11
	v_fmac_f32_e32 v2, v10, v0
	s_delay_alu instid0(VALU_DEP_3)
	v_dual_fmac_f32 v6, v0, v9 :: v_dual_fmac_f32 v7, v10, v0
	ds_store_b64 v39, v[1:2] offset:1280
	ds_store_b64 v5, v[6:7] offset:1536
.LBB0_21:
	s_wait_alu 0xfffe
	s_or_b32 exec_lo, exec_lo, s1
	v_add3_u32 v33, 0, v4, v18
	global_wb scope:SCOPE_SE
	s_wait_dscnt 0x0
	s_barrier_signal -1
	s_barrier_wait -1
	global_inv scope:SCOPE_SE
	global_wb scope:SCOPE_SE
	s_barrier_signal -1
	s_barrier_wait -1
	global_inv scope:SCOPE_SE
	ds_load_b64 v[23:24], v39
	ds_load_2addr_b64 v[0:3], v33 offset0:32 offset1:64
	v_add_nc_u32_e32 v4, 0x800, v33
	v_cmp_gt_u32_e64 s0, 16, v32
	s_wait_dscnt 0x0
	v_add_f32_e32 v25, v23, v0
	ds_load_2addr_b64 v[4:7], v4 offset0:32 offset1:64
	ds_load_2addr_b64 v[8:11], v33 offset0:96 offset1:128
	v_dual_add_f32 v26, v24, v1 :: v_dual_add_f32 v25, v25, v2
	s_delay_alu instid0(VALU_DEP_1)
	v_dual_add_f32 v26, v26, v3 :: v_dual_add_nc_u32 v13, 0x400, v33
	ds_load_2addr_b64 v[14:17], v33 offset0:160 offset1:192
	ds_load_2addr_b64 v[19:22], v13 offset0:96 offset1:128
	global_wb scope:SCOPE_SE
	s_wait_dscnt 0x0
	s_barrier_signal -1
	s_barrier_wait -1
	global_inv scope:SCOPE_SE
	v_dual_add_f32 v27, v6, v0 :: v_dual_sub_f32 v28, v1, v7
	v_dual_sub_f32 v29, v0, v6 :: v_dual_add_f32 v36, v7, v1
	v_dual_add_f32 v0, v25, v8 :: v_dual_add_f32 v1, v26, v9
	s_delay_alu instid0(VALU_DEP_2) | instskip(SKIP_1) | instid1(VALU_DEP_3)
	v_dual_mul_f32 v25, 0xbf0a6770, v28 :: v_dual_mul_f32 v26, 0xbf0a6770, v29
	v_dual_mul_f32 v41, 0xbf7d64f0, v28 :: v_dual_mul_f32 v42, 0xbf7d64f0, v29
	v_dual_add_f32 v0, v0, v10 :: v_dual_add_f32 v1, v1, v11
	s_delay_alu instid0(VALU_DEP_3) | instskip(SKIP_1) | instid1(VALU_DEP_3)
	v_fma_f32 v45, 0x3f575c64, v27, -v25
	v_dual_mul_f32 v37, 0xbf68dda4, v28 :: v_dual_mul_f32 v40, 0xbf68dda4, v29
	v_dual_add_f32 v0, v0, v14 :: v_dual_add_f32 v1, v1, v15
	v_dual_fmamk_f32 v46, v36, 0x3f575c64, v26 :: v_dual_fmac_f32 v25, 0x3f575c64, v27
	v_fma_f32 v49, 0xbe11bafb, v27, -v41
	s_delay_alu instid0(VALU_DEP_3) | instskip(NEXT) | instid1(VALU_DEP_4)
	v_dual_add_f32 v0, v0, v16 :: v_dual_fmac_f32 v41, 0xbe11bafb, v27
	v_dual_fmamk_f32 v50, v36, 0xbe11bafb, v42 :: v_dual_add_f32 v1, v1, v17
	s_delay_alu instid0(VALU_DEP_2) | instskip(SKIP_2) | instid1(VALU_DEP_4)
	v_dual_add_f32 v45, v23, v45 :: v_dual_add_f32 v0, v0, v19
	v_fma_f32 v47, 0x3ed4b147, v27, -v37
	v_dual_fmamk_f32 v48, v36, 0x3ed4b147, v40 :: v_dual_fmac_f32 v37, 0x3ed4b147, v27
	v_dual_add_f32 v1, v1, v20 :: v_dual_add_f32 v46, v24, v46
	s_delay_alu instid0(VALU_DEP_4) | instskip(SKIP_2) | instid1(VALU_DEP_4)
	v_dual_add_f32 v0, v0, v21 :: v_dual_mul_f32 v43, 0xbf4178ce, v28
	v_mul_f32_e32 v44, 0xbf4178ce, v29
	v_fma_f32 v40, 0x3ed4b147, v36, -v40
	v_add_f32_e32 v1, v1, v22
	s_delay_alu instid0(VALU_DEP_4) | instskip(SKIP_1) | instid1(VALU_DEP_3)
	v_dual_add_f32 v37, v23, v37 :: v_dual_add_f32 v0, v0, v4
	v_fma_f32 v42, 0xbe11bafb, v36, -v42
	v_dual_add_f32 v40, v24, v40 :: v_dual_add_f32 v1, v1, v5
	v_mul_f32_e32 v28, 0xbe903f40, v28
	s_delay_alu instid0(VALU_DEP_4)
	v_add_f32_e32 v0, v0, v6
	v_fma_f32 v6, 0xbf27a4f4, v27, -v43
	v_mul_f32_e32 v29, 0xbe903f40, v29
	v_add_f32_e32 v1, v1, v7
	v_add_f32_e32 v7, v23, v41
	v_dual_add_f32 v41, v24, v42 :: v_dual_sub_f32 v52, v3, v5
	v_add_f32_e32 v6, v23, v6
	v_dual_fmamk_f32 v42, v36, 0xbf27a4f4, v44 :: v_dual_fmac_f32 v43, 0xbf27a4f4, v27
	v_fma_f32 v51, 0xbf75a155, v27, -v28
	v_dual_fmamk_f32 v53, v36, 0xbf75a155, v29 :: v_dual_fmac_f32 v28, 0xbf75a155, v27
	v_dual_sub_f32 v27, v2, v4 :: v_dual_add_f32 v2, v4, v2
	v_dual_mul_f32 v4, 0xbf68dda4, v52 :: v_dual_add_f32 v3, v5, v3
	v_fma_f32 v26, 0x3f575c64, v36, -v26
	v_fma_f32 v44, 0xbf27a4f4, v36, -v44
	;; [unrolled: 1-line block ×3, first 2 shown]
	v_dual_mul_f32 v5, 0xbf68dda4, v27 :: v_dual_add_f32 v36, v24, v53
	v_fma_f32 v53, 0x3ed4b147, v2, -v4
	v_dual_add_f32 v25, v23, v25 :: v_dual_add_f32 v26, v24, v26
	v_dual_add_f32 v47, v23, v47 :: v_dual_add_f32 v48, v24, v48
	;; [unrolled: 1-line block ×6, first 2 shown]
	v_dual_fmamk_f32 v28, v3, 0x3ed4b147, v5 :: v_dual_add_f32 v45, v53, v45
	v_mul_f32_e32 v29, 0xbf4178ce, v52
	v_fma_f32 v5, 0x3ed4b147, v3, -v5
	v_mul_f32_e32 v54, 0x3e903f40, v27
	s_delay_alu instid0(VALU_DEP_4) | instskip(NEXT) | instid1(VALU_DEP_4)
	v_add_f32_e32 v28, v28, v46
	v_fma_f32 v46, 0xbf27a4f4, v2, -v29
	v_fmac_f32_e32 v29, 0xbf27a4f4, v2
	v_fmac_f32_e32 v4, 0x3ed4b147, v2
	s_delay_alu instid0(VALU_DEP_3) | instskip(NEXT) | instid1(VALU_DEP_3)
	v_dual_add_f32 v5, v5, v26 :: v_dual_add_f32 v26, v46, v47
	v_add_f32_e32 v29, v29, v37
	s_delay_alu instid0(VALU_DEP_3) | instskip(SKIP_1) | instid1(VALU_DEP_2)
	v_dual_mul_f32 v53, 0xbf4178ce, v27 :: v_dual_add_f32 v4, v4, v25
	v_mul_f32_e32 v25, 0x3e903f40, v52
	v_fmamk_f32 v46, v3, 0xbf27a4f4, v53
	v_fma_f32 v47, 0xbf27a4f4, v3, -v53
	s_delay_alu instid0(VALU_DEP_3) | instskip(SKIP_1) | instid1(VALU_DEP_2)
	v_fma_f32 v53, 0xbf75a155, v2, -v25
	v_fmac_f32_e32 v25, 0xbf75a155, v2
	v_dual_add_f32 v37, v47, v40 :: v_dual_add_f32 v40, v53, v49
	v_fmamk_f32 v47, v3, 0xbf75a155, v54
	v_mul_f32_e32 v49, 0x3f7d64f0, v27
	s_delay_alu instid0(VALU_DEP_4) | instskip(NEXT) | instid1(VALU_DEP_3)
	v_dual_add_f32 v7, v25, v7 :: v_dual_add_f32 v46, v46, v48
	v_dual_mul_f32 v48, 0x3f7d64f0, v52 :: v_dual_add_f32 v47, v47, v50
	v_mul_f32_e32 v52, 0x3f0a6770, v52
	s_delay_alu instid0(VALU_DEP_4) | instskip(SKIP_1) | instid1(VALU_DEP_4)
	v_fmamk_f32 v25, v3, 0xbe11bafb, v49
	v_fma_f32 v53, 0xbf75a155, v3, -v54
	v_fma_f32 v50, 0xbe11bafb, v2, -v48
	v_fmac_f32_e32 v48, 0xbe11bafb, v2
	v_mul_f32_e32 v27, 0x3f0a6770, v27
	v_add_f32_e32 v25, v25, v42
	v_fma_f32 v42, 0xbe11bafb, v3, -v49
	v_add_f32_e32 v6, v50, v6
	v_fma_f32 v49, 0x3f575c64, v2, -v52
	v_dual_add_f32 v43, v48, v43 :: v_dual_add_f32 v50, v21, v8
	v_sub_f32_e32 v8, v8, v21
	v_dual_add_f32 v41, v53, v41 :: v_dual_fmac_f32 v52, 0x3f575c64, v2
	v_sub_f32_e32 v48, v9, v22
	v_add_f32_e32 v42, v42, v44
	v_dual_add_f32 v44, v49, v51 :: v_dual_fmamk_f32 v49, v3, 0x3f575c64, v27
	v_fma_f32 v2, 0x3f575c64, v3, -v27
	v_add_f32_e32 v3, v22, v9
	v_mul_f32_e32 v21, 0xbf7d64f0, v8
	s_delay_alu instid0(VALU_DEP_4) | instskip(NEXT) | instid1(VALU_DEP_4)
	v_dual_add_f32 v23, v52, v23 :: v_dual_add_f32 v22, v49, v36
	v_add_f32_e32 v2, v2, v24
	v_mul_f32_e32 v27, 0x3e903f40, v48
	s_delay_alu instid0(VALU_DEP_4) | instskip(SKIP_2) | instid1(VALU_DEP_3)
	v_fmamk_f32 v24, v3, 0xbe11bafb, v21
	v_mul_f32_e32 v36, 0x3e903f40, v8
	v_mul_f32_e32 v49, 0xbf0a6770, v8
	v_add_f32_e32 v24, v24, v28
	v_fma_f32 v28, 0xbf75a155, v50, -v27
	s_delay_alu instid0(VALU_DEP_1) | instskip(NEXT) | instid1(VALU_DEP_1)
	v_dual_mul_f32 v51, 0xbf7d64f0, v48 :: v_dual_add_f32 v26, v28, v26
	v_fma_f32 v9, 0xbe11bafb, v50, -v51
	v_fma_f32 v28, 0xbf75a155, v3, -v36
	s_delay_alu instid0(VALU_DEP_2) | instskip(NEXT) | instid1(VALU_DEP_2)
	v_add_f32_e32 v9, v9, v45
	v_add_f32_e32 v28, v28, v37
	v_fma_f32 v21, 0xbe11bafb, v3, -v21
	v_mul_f32_e32 v45, 0x3f68dda4, v48
	s_delay_alu instid0(VALU_DEP_2) | instskip(SKIP_1) | instid1(VALU_DEP_3)
	v_add_f32_e32 v5, v21, v5
	v_fmamk_f32 v21, v3, 0xbf75a155, v36
	v_fma_f32 v36, 0x3ed4b147, v50, -v45
	v_fmac_f32_e32 v51, 0xbe11bafb, v50
	s_delay_alu instid0(VALU_DEP_3) | instskip(NEXT) | instid1(VALU_DEP_3)
	v_dual_add_f32 v21, v21, v46 :: v_dual_mul_f32 v46, 0x3f68dda4, v8
	v_add_f32_e32 v36, v36, v40
	v_mul_f32_e32 v8, 0xbf4178ce, v8
	s_delay_alu instid0(VALU_DEP_3) | instskip(NEXT) | instid1(VALU_DEP_1)
	v_fma_f32 v40, 0x3ed4b147, v3, -v46
	v_dual_fmamk_f32 v37, v3, 0x3ed4b147, v46 :: v_dual_add_f32 v40, v40, v41
	v_dual_add_f32 v4, v51, v4 :: v_dual_fmac_f32 v27, 0xbf75a155, v50
	v_fmamk_f32 v41, v3, 0x3f575c64, v49
	s_delay_alu instid0(VALU_DEP_2) | instskip(SKIP_1) | instid1(VALU_DEP_3)
	v_add_f32_e32 v27, v27, v29
	v_mul_f32_e32 v29, 0xbf0a6770, v48
	v_add_f32_e32 v25, v41, v25
	s_delay_alu instid0(VALU_DEP_2) | instskip(NEXT) | instid1(VALU_DEP_1)
	v_fma_f32 v46, 0x3f575c64, v50, -v29
	v_add_f32_e32 v6, v46, v6
	v_fmac_f32_e32 v45, 0x3ed4b147, v50
	s_delay_alu instid0(VALU_DEP_1) | instskip(SKIP_1) | instid1(VALU_DEP_1)
	v_add_f32_e32 v7, v45, v7
	v_mul_f32_e32 v45, 0xbf4178ce, v48
	v_fma_f32 v41, 0xbf27a4f4, v50, -v45
	s_delay_alu instid0(VALU_DEP_1) | instskip(SKIP_4) | instid1(VALU_DEP_2)
	v_dual_add_f32 v41, v41, v44 :: v_dual_add_f32 v44, v19, v10
	v_sub_f32_e32 v10, v10, v19
	v_add_f32_e32 v37, v37, v47
	v_fmamk_f32 v47, v3, 0xbf27a4f4, v8
	v_fmac_f32_e32 v45, 0xbf27a4f4, v50
	v_add_f32_e32 v22, v47, v22
	v_fma_f32 v46, 0x3f575c64, v3, -v49
	v_fma_f32 v3, 0xbf27a4f4, v3, -v8
	v_add_f32_e32 v8, v20, v11
	s_delay_alu instid0(VALU_DEP_3) | instskip(SKIP_1) | instid1(VALU_DEP_1)
	v_dual_add_f32 v23, v45, v23 :: v_dual_add_f32 v42, v46, v42
	v_fmac_f32_e32 v29, 0x3f575c64, v50
	v_dual_add_f32 v2, v3, v2 :: v_dual_add_f32 v29, v29, v43
	v_sub_f32_e32 v43, v11, v20
	v_mul_f32_e32 v11, 0xbf4178ce, v10
	s_delay_alu instid0(VALU_DEP_2) | instskip(SKIP_1) | instid1(VALU_DEP_3)
	v_mul_f32_e32 v19, 0xbf4178ce, v43
	v_mul_f32_e32 v3, 0x3f7d64f0, v43
	v_fmamk_f32 v45, v8, 0xbf27a4f4, v11
	v_fma_f32 v11, 0xbf27a4f4, v8, -v11
	s_delay_alu instid0(VALU_DEP_4) | instskip(SKIP_1) | instid1(VALU_DEP_3)
	v_fma_f32 v20, 0xbf27a4f4, v44, -v19
	v_fmac_f32_e32 v19, 0xbf27a4f4, v44
	v_dual_add_f32 v24, v45, v24 :: v_dual_add_f32 v5, v11, v5
	s_delay_alu instid0(VALU_DEP_3) | instskip(SKIP_1) | instid1(VALU_DEP_4)
	v_add_f32_e32 v9, v20, v9
	v_fma_f32 v20, 0xbe11bafb, v44, -v3
	v_dual_mul_f32 v45, 0x3f7d64f0, v10 :: v_dual_add_f32 v4, v19, v4
	v_mul_f32_e32 v19, 0xbf0a6770, v43
	s_delay_alu instid0(VALU_DEP_3) | instskip(NEXT) | instid1(VALU_DEP_3)
	v_add_f32_e32 v11, v20, v26
	v_fmamk_f32 v20, v8, 0xbe11bafb, v45
	v_fmac_f32_e32 v3, 0xbe11bafb, v44
	v_fma_f32 v26, 0xbe11bafb, v8, -v45
	v_fma_f32 v46, 0x3f575c64, v44, -v19
	s_delay_alu instid0(VALU_DEP_3) | instskip(SKIP_1) | instid1(VALU_DEP_3)
	v_dual_add_f32 v20, v20, v21 :: v_dual_add_f32 v21, v3, v27
	v_mul_f32_e32 v45, 0xbf0a6770, v10
	v_add_f32_e32 v27, v46, v36
	v_fmac_f32_e32 v19, 0x3f575c64, v44
	s_delay_alu instid0(VALU_DEP_3) | instskip(SKIP_1) | instid1(VALU_DEP_3)
	v_dual_add_f32 v26, v26, v28 :: v_dual_fmamk_f32 v3, v8, 0x3f575c64, v45
	v_fma_f32 v36, 0x3f575c64, v8, -v45
	v_add_f32_e32 v19, v19, v7
	s_delay_alu instid0(VALU_DEP_3) | instskip(NEXT) | instid1(VALU_DEP_3)
	v_add_f32_e32 v37, v3, v37
	v_dual_mul_f32 v3, 0xbe903f40, v10 :: v_dual_add_f32 v36, v36, v40
	v_mul_f32_e32 v10, 0x3f68dda4, v10
	s_delay_alu instid0(VALU_DEP_2) | instskip(SKIP_3) | instid1(VALU_DEP_3)
	v_fmamk_f32 v40, v8, 0xbf75a155, v3
	v_mul_f32_e32 v28, 0xbe903f40, v43
	v_mul_f32_e32 v7, 0x3f68dda4, v43
	v_fma_f32 v3, 0xbf75a155, v8, -v3
	v_fma_f32 v45, 0xbf75a155, v44, -v28
	s_delay_alu instid0(VALU_DEP_1) | instskip(NEXT) | instid1(VALU_DEP_4)
	v_dual_fmac_f32 v28, 0xbf75a155, v44 :: v_dual_add_f32 v43, v45, v6
	v_fma_f32 v6, 0x3ed4b147, v44, -v7
	s_delay_alu instid0(VALU_DEP_2)
	v_dual_add_f32 v28, v28, v29 :: v_dual_fmac_f32 v7, 0x3ed4b147, v44
	v_add_f32_e32 v44, v16, v14
	v_dual_add_f32 v29, v3, v42 :: v_dual_sub_f32 v42, v14, v16
	v_add_f32_e32 v25, v40, v25
	v_add_f32_e32 v40, v6, v41
	v_sub_f32_e32 v41, v15, v17
	v_fmamk_f32 v3, v8, 0x3ed4b147, v10
	v_fma_f32 v8, 0x3ed4b147, v8, -v10
	v_dual_add_f32 v45, v17, v15 :: v_dual_mul_f32 v10, 0xbe903f40, v42
	s_delay_alu instid0(VALU_DEP_4) | instskip(NEXT) | instid1(VALU_DEP_4)
	v_mul_f32_e32 v6, 0xbe903f40, v41
	v_add_f32_e32 v22, v3, v22
	s_delay_alu instid0(VALU_DEP_4) | instskip(NEXT) | instid1(VALU_DEP_4)
	v_dual_add_f32 v23, v7, v23 :: v_dual_add_f32 v46, v8, v2
	v_fmamk_f32 v7, v45, 0xbf75a155, v10
	s_delay_alu instid0(VALU_DEP_4) | instskip(SKIP_3) | instid1(VALU_DEP_4)
	v_fma_f32 v3, 0xbf75a155, v44, -v6
	v_mul_f32_e32 v8, 0x3f0a6770, v41
	v_fmac_f32_e32 v6, 0xbf75a155, v44
	v_mul_f32_e32 v16, 0xbf4178ce, v41
	v_add_f32_e32 v2, v3, v9
	v_fma_f32 v9, 0xbf75a155, v45, -v10
	v_dual_mul_f32 v10, 0x3f0a6770, v42 :: v_dual_add_f32 v3, v7, v24
	v_fma_f32 v7, 0x3f575c64, v44, -v8
	s_delay_alu instid0(VALU_DEP_3) | instskip(NEXT) | instid1(VALU_DEP_3)
	v_dual_fmac_f32 v8, 0x3f575c64, v44 :: v_dual_add_f32 v15, v9, v5
	v_dual_fmamk_f32 v5, v45, 0x3f575c64, v10 :: v_dual_add_f32 v14, v6, v4
	s_delay_alu instid0(VALU_DEP_3) | instskip(SKIP_2) | instid1(VALU_DEP_4)
	v_add_f32_e32 v4, v7, v11
	v_fma_f32 v7, 0x3f575c64, v45, -v10
	v_fma_f32 v9, 0xbf27a4f4, v44, -v16
	v_dual_add_f32 v5, v5, v20 :: v_dual_mul_f32 v20, 0x3f68dda4, v41
	v_mul_f32_e32 v10, 0xbf4178ce, v42
	v_add_f32_e32 v6, v8, v21
	v_fmac_f32_e32 v16, 0xbf27a4f4, v44
	v_mul_f32_e32 v21, 0x3f68dda4, v42
	v_fma_f32 v17, 0x3ed4b147, v44, -v20
	v_dual_add_f32 v7, v7, v26 :: v_dual_add_f32 v8, v9, v27
	v_fmamk_f32 v9, v45, 0xbf27a4f4, v10
	v_fma_f32 v11, 0xbf27a4f4, v45, -v10
	v_add_f32_e32 v10, v16, v19
	v_add_f32_e32 v16, v17, v43
	v_mul_f32_e32 v24, 0xbf7d64f0, v41
	v_fmamk_f32 v19, v45, 0x3ed4b147, v21
	v_mul_f32_e32 v26, 0xbf7d64f0, v42
	v_dual_fmac_f32 v20, 0x3ed4b147, v44 :: v_dual_add_f32 v9, v9, v37
	v_add_f32_e32 v11, v11, v36
	s_delay_alu instid0(VALU_DEP_4) | instskip(NEXT) | instid1(VALU_DEP_4)
	v_add_f32_e32 v17, v19, v25
	v_fmamk_f32 v25, v45, 0xbe11bafb, v26
	s_delay_alu instid0(VALU_DEP_4)
	v_add_f32_e32 v19, v20, v28
	v_fma_f32 v20, 0x3ed4b147, v45, -v21
	v_fma_f32 v21, 0xbe11bafb, v44, -v24
	v_fmac_f32_e32 v24, 0xbe11bafb, v44
	v_fma_f32 v26, 0xbe11bafb, v45, -v26
	v_add_f32_e32 v22, v25, v22
	v_mad_u32_u24 v25, 0x50, v32, v33
	v_dual_add_f32 v21, v21, v40 :: v_dual_add_f32 v20, v20, v29
	s_delay_alu instid0(VALU_DEP_4)
	v_dual_add_f32 v23, v24, v23 :: v_dual_add_f32 v24, v26, v46
	ds_store_2addr_b64 v25, v[0:1], v[2:3] offset1:1
	ds_store_2addr_b64 v25, v[4:5], v[8:9] offset0:2 offset1:3
	ds_store_2addr_b64 v25, v[16:17], v[21:22] offset0:4 offset1:5
	ds_store_2addr_b64 v25, v[23:24], v[19:20] offset0:6 offset1:7
	ds_store_2addr_b64 v25, v[10:11], v[6:7] offset0:8 offset1:9
	ds_store_b64 v25, v[14:15] offset:80
	global_wb scope:SCOPE_SE
	s_wait_dscnt 0x0
	s_barrier_signal -1
	s_barrier_wait -1
	global_inv scope:SCOPE_SE
	ds_load_2addr_b64 v[0:3], v33 offset0:176 offset1:208
	ds_load_2addr_b64 v[22:25], v33 offset0:32 offset1:64
	;; [unrolled: 1-line block ×4, first 2 shown]
	ds_load_b64 v[8:9], v39
	ds_load_b64 v[10:11], v33 offset:2432
	s_and_saveexec_b32 s1, s0
	s_cbranch_execz .LBB0_23
; %bb.22:
	ds_load_2addr_b64 v[14:17], v13 offset0:32 offset1:208
.LBB0_23:
	s_wait_alu 0xfffe
	s_or_b32 exec_lo, exec_lo, s1
	v_and_b32_e32 v13, 0xff, v32
	v_or_b32_e32 v20, 32, v32
	v_or_b32_e32 v21, 64, v32
	v_or_b32_e32 v36, 0x60, v32
	v_or_b32_e32 v37, 0x80, v32
	v_mul_lo_u16 v13, 0x75, v13
	v_and_b32_e32 v19, 0xff, v12
	v_and_b32_e32 v40, 0xff, v20
	;; [unrolled: 1-line block ×4, first 2 shown]
	v_lshrrev_b16 v13, 8, v13
	v_and_b32_e32 v43, 0xff, v37
	v_mul_lo_u16 v19, 0x75, v19
	v_mul_lo_u16 v40, 0x75, v40
	;; [unrolled: 1-line block ×3, first 2 shown]
	v_sub_nc_u16 v44, v32, v13
	v_mul_lo_u16 v42, 0x75, v42
	v_mul_lo_u16 v43, 0x75, v43
	v_lshrrev_b16 v19, 8, v19
	v_lshrrev_b16 v40, 8, v40
	;; [unrolled: 1-line block ×6, first 2 shown]
	v_sub_nc_u16 v45, v12, v19
	v_and_b32_e32 v44, 0x7f, v44
	v_sub_nc_u16 v46, v20, v40
	v_sub_nc_u16 v47, v21, v41
	;; [unrolled: 1-line block ×4, first 2 shown]
	v_add_nc_u16 v13, v44, v13
	v_lshrrev_b16 v44, 1, v45
	v_lshrrev_b16 v45, 1, v46
	;; [unrolled: 1-line block ×6, first 2 shown]
	v_and_b32_e32 v45, 0x7f, v45
	v_and_b32_e32 v46, 0x7f, v46
	;; [unrolled: 1-line block ×3, first 2 shown]
	v_mul_lo_u16 v49, v48, 11
	v_and_b32_e32 v13, 0x7f, v13
	v_add_nc_u16 v40, v45, v40
	v_add_nc_u16 v41, v46, v41
	v_and_b32_e32 v44, 0x7f, v44
	v_sub_nc_u16 v45, v32, v49
	v_add_nc_u16 v42, v47, v42
	v_lshrrev_b16 v47, 3, v40
	v_lshrrev_b16 v49, 3, v41
	v_add_nc_u16 v13, v13, v43
	v_add_nc_u16 v19, v44, v19
	v_and_b32_e32 v40, 0xff, v45
	v_lshrrev_b16 v50, 3, v42
	v_mul_lo_u16 v41, v47, 11
	v_mul_lo_u16 v42, v49, 11
	v_lshrrev_b16 v52, 3, v13
	v_lshlrev_b32_e32 v51, 3, v40
	v_lshrrev_b16 v19, 3, v19
	v_sub_nc_u16 v13, v20, v41
	v_mul_lo_u16 v20, v50, 11
	v_sub_nc_u16 v21, v21, v42
	v_mul_lo_u16 v40, v52, 11
	v_mul_lo_u16 v41, v19, 11
	v_and_b32_e32 v42, 0xff, v13
	v_sub_nc_u16 v20, v36, v20
	v_and_b32_e32 v21, 0xff, v21
	v_sub_nc_u16 v36, v37, v40
	v_sub_nc_u16 v37, v12, v41
	global_load_b64 v[12:13], v51, s[8:9]
	v_and_b32_e32 v20, 0xff, v20
	v_lshlrev_b32_e32 v53, 3, v42
	v_and_b32_e32 v36, 0xff, v36
	v_lshlrev_b32_e32 v54, 3, v21
	;; [unrolled: 2-line block ×3, first 2 shown]
	global_load_b64 v[20:21], v53, s[8:9]
	v_lshlrev_b32_e32 v56, 3, v36
	global_load_b64 v[36:37], v54, s[8:9]
	v_and_b32_e32 v48, 0xffff, v48
	v_and_b32_e32 v52, 0xffff, v52
	s_delay_alu instid0(VALU_DEP_2) | instskip(NEXT) | instid1(VALU_DEP_2)
	v_mad_u32_u24 v48, 0xb0, v48, 0
	v_mad_u32_u24 v52, 0xb0, v52, 0
	s_delay_alu instid0(VALU_DEP_2) | instskip(SKIP_3) | instid1(VALU_DEP_2)
	v_add3_u32 v48, v48, v51, v18
	s_wait_loadcnt_dscnt 0x205
	v_mul_f32_e32 v51, v13, v1
	v_mul_f32_e32 v13, v13, v0
	v_fma_f32 v0, v12, v0, -v51
	s_delay_alu instid0(VALU_DEP_2)
	v_fmac_f32_e32 v13, v12, v1
	s_wait_loadcnt 0x1
	v_mul_f32_e32 v1, v21, v3
	v_mul_f32_e32 v12, v21, v2
	s_wait_loadcnt_dscnt 0x3
	v_mul_f32_e32 v51, v37, v4
	s_wait_dscnt 0x1
	v_dual_mul_f32 v21, v37, v5 :: v_dual_sub_f32 v0, v8, v0
	v_fma_f32 v2, v20, v2, -v1
	v_fmac_f32_e32 v12, v20, v3
	v_fmac_f32_e32 v51, v36, v5
	s_delay_alu instid0(VALU_DEP_4) | instskip(NEXT) | instid1(VALU_DEP_4)
	v_fma_f32 v3, v36, v4, -v21
	v_dual_sub_f32 v4, v22, v2 :: v_dual_and_b32 v49, 0xffff, v49
	v_fma_f32 v36, v8, 2.0, -v0
	s_delay_alu instid0(VALU_DEP_4) | instskip(NEXT) | instid1(VALU_DEP_4)
	v_sub_f32_e32 v21, v25, v51
	v_sub_f32_e32 v20, v24, v3
	v_lshlrev_b32_e32 v40, 3, v40
	s_clause 0x2
	global_load_b64 v[41:42], v55, s[8:9]
	global_load_b64 v[43:44], v56, s[8:9]
	;; [unrolled: 1-line block ×3, first 2 shown]
	v_mad_u32_u24 v49, 0xb0, v49, 0
	v_sub_f32_e32 v5, v23, v12
	v_sub_f32_e32 v1, v9, v13
	v_fma_f32 v2, v22, 2.0, -v4
	v_add3_u32 v52, v52, v56, v18
	v_add3_u32 v49, v49, v54, v18
	v_fma_f32 v3, v23, 2.0, -v5
	global_wb scope:SCOPE_SE
	s_wait_loadcnt_dscnt 0x0
	s_barrier_signal -1
	s_barrier_wait -1
	global_inv scope:SCOPE_SE
	v_mul_f32_e32 v37, v42, v7
	v_mul_f32_e32 v42, v42, v6
	;; [unrolled: 1-line block ×4, first 2 shown]
	s_delay_alu instid0(VALU_DEP_4) | instskip(SKIP_2) | instid1(VALU_DEP_4)
	v_fma_f32 v6, v41, v6, -v37
	v_and_b32_e32 v47, 0xffff, v47
	v_fmac_f32_e32 v42, v41, v7
	v_fmac_f32_e32 v46, v17, v45
	v_fma_f32 v37, v9, 2.0, -v1
	v_sub_f32_e32 v8, v26, v6
	v_mad_u32_u24 v47, 0xb0, v47, 0
	v_sub_f32_e32 v9, v27, v42
	v_sub_f32_e32 v17, v15, v46
	v_fma_f32 v6, v24, 2.0, -v20
	v_fma_f32 v22, v26, 2.0, -v8
	v_add3_u32 v47, v47, v53, v18
	v_mul_f32_e32 v53, v44, v11
	v_mul_f32_e32 v44, v44, v10
	v_fma_f32 v23, v27, 2.0, -v9
	v_fma_f32 v15, v15, 2.0, -v17
	s_delay_alu instid0(VALU_DEP_4) | instskip(NEXT) | instid1(VALU_DEP_4)
	v_fma_f32 v7, v43, v10, -v53
	v_fmac_f32_e32 v44, v43, v11
	v_fma_f32 v10, v16, v45, -v54
	v_and_b32_e32 v50, 0xffff, v50
	s_delay_alu instid0(VALU_DEP_3) | instskip(NEXT) | instid1(VALU_DEP_3)
	v_dual_sub_f32 v12, v28, v7 :: v_dual_sub_f32 v13, v29, v44
	v_sub_f32_e32 v16, v14, v10
	s_delay_alu instid0(VALU_DEP_3) | instskip(SKIP_1) | instid1(VALU_DEP_4)
	v_mad_u32_u24 v50, 0xb0, v50, 0
	v_fma_f32 v7, v25, 2.0, -v21
	v_fma_f32 v10, v28, 2.0, -v12
	;; [unrolled: 1-line block ×4, first 2 shown]
	v_add3_u32 v50, v50, v55, v18
	ds_store_2addr_b64 v48, v[36:37], v[0:1] offset1:11
	ds_store_2addr_b64 v47, v[2:3], v[4:5] offset1:11
	;; [unrolled: 1-line block ×5, first 2 shown]
	s_and_saveexec_b32 s1, s0
	s_cbranch_execz .LBB0_25
; %bb.24:
	v_and_b32_e32 v19, 0xffff, v19
	s_delay_alu instid0(VALU_DEP_1) | instskip(NEXT) | instid1(VALU_DEP_1)
	v_mad_u32_u24 v19, 0xb0, v19, 0
	v_add3_u32 v18, v19, v40, v18
	ds_store_2addr_b64 v18, v[14:15], v[16:17] offset1:11
.LBB0_25:
	s_wait_alu 0xfffe
	s_or_b32 exec_lo, exec_lo, s1
	v_cmp_gt_u32_e64 s0, 22, v32
	global_wb scope:SCOPE_SE
	s_wait_dscnt 0x0
	s_barrier_signal -1
	s_barrier_wait -1
	global_inv scope:SCOPE_SE
                                        ; implicit-def: $vgpr25
                                        ; implicit-def: $vgpr29
	s_and_saveexec_b32 s1, s0
	s_cbranch_execz .LBB0_27
; %bb.26:
	v_add_nc_u32_e32 v16, 0x400, v33
	v_add_nc_u32_e32 v24, 0x800, v33
	ds_load_2addr_b64 v[0:3], v33 offset0:22 offset1:44
	ds_load_2addr_b64 v[4:7], v33 offset0:66 offset1:88
	;; [unrolled: 1-line block ×7, first 2 shown]
	ds_load_b64 v[36:37], v39
	ds_load_b64 v[28:29], v33 offset:2640
.LBB0_27:
	s_wait_alu 0xfffe
	s_or_b32 exec_lo, exec_lo, s1
	global_wb scope:SCOPE_SE
	s_wait_dscnt 0x0
	s_barrier_signal -1
	s_barrier_wait -1
	global_inv scope:SCOPE_SE
	s_and_saveexec_b32 s1, s0
	s_cbranch_execz .LBB0_29
; %bb.28:
	v_subrev_nc_u32_e32 v40, 22, v32
	v_dual_mov_b32 v41, 0 :: v_dual_add_nc_u32 v70, 0x400, v33
	s_delay_alu instid0(VALU_DEP_2) | instskip(NEXT) | instid1(VALU_DEP_1)
	v_cndmask_b32_e64 v40, v40, v32, s0
	v_mul_i32_i24_e32 v40, 15, v40
	s_delay_alu instid0(VALU_DEP_1) | instskip(NEXT) | instid1(VALU_DEP_1)
	v_lshlrev_b64_e32 v[40:41], 3, v[40:41]
	v_add_co_u32 v68, s0, s8, v40
	s_wait_alu 0xf1ff
	s_delay_alu instid0(VALU_DEP_2)
	v_add_co_ci_u32_e64 v69, s0, s9, v41, s0
	s_clause 0x7
	global_load_b128 v[40:43], v[68:69], off offset:88
	global_load_b128 v[44:47], v[68:69], off offset:152
	;; [unrolled: 1-line block ×7, first 2 shown]
	global_load_b64 v[68:69], v[68:69], off offset:200
	s_wait_loadcnt 0x7
	v_dual_mul_f32 v72, v3, v43 :: v_dual_add_nc_u32 v71, 0x800, v33
	s_wait_loadcnt 0x6
	v_mul_f32_e32 v73, v15, v47
	s_wait_loadcnt 0x5
	v_mul_f32_e32 v74, v22, v51
	;; [unrolled: 2-line block ×3, first 2 shown]
	v_dual_mul_f32 v55, v27, v55 :: v_dual_mul_f32 v86, v24, v53
	s_wait_loadcnt 0x1
	v_dual_mul_f32 v78, v10, v67 :: v_dual_mul_f32 v83, v1, v41
	v_mul_f32_e32 v47, v14, v47
	v_dual_mul_f32 v76, v7, v59 :: v_dual_mul_f32 v81, v8, v65
	v_mul_f32_e32 v79, v5, v57
	v_dual_mul_f32 v43, v2, v43 :: v_dual_fmac_f32 v74, v23, v50
	s_wait_loadcnt 0x0
	v_mul_f32_e32 v82, v28, v69
	v_dual_mul_f32 v57, v4, v57 :: v_dual_fmac_f32 v86, v25, v52
	v_fmac_f32_e32 v78, v11, v66
	v_dual_mul_f32 v51, v23, v51 :: v_dual_mul_f32 v84, v13, v45
	s_delay_alu instid0(VALU_DEP_4)
	v_dual_mul_f32 v77, v19, v63 :: v_dual_fmac_f32 v82, v29, v68
	v_mul_f32_e32 v85, v20, v49
	v_fmac_f32_e32 v75, v27, v54
	v_fmac_f32_e32 v43, v3, v42
	;; [unrolled: 1-line block ×3, first 2 shown]
	v_mul_f32_e32 v49, v21, v49
	v_fmac_f32_e32 v81, v9, v64
	v_mul_f32_e32 v23, v0, v41
	v_fmac_f32_e32 v57, v5, v56
	v_sub_f32_e32 v15, v37, v78
	v_mul_f32_e32 v41, v12, v45
	v_dual_mul_f32 v45, v11, v67 :: v_dual_mul_f32 v80, v17, v61
	v_mul_f32_e32 v69, v29, v69
	v_fma_f32 v20, v20, v48, -v49
	v_fma_f32 v2, v2, v42, -v72
	;; [unrolled: 1-line block ×3, first 2 shown]
	v_fmac_f32_e32 v23, v1, v40
	v_fma_f32 v1, v10, v66, -v45
	v_dual_sub_f32 v10, v74, v75 :: v_dual_fmac_f32 v85, v21, v48
	v_dual_mul_f32 v48, v6, v59 :: v_dual_mul_f32 v65, v9, v65
	v_fma_f32 v3, v6, v58, -v76
	v_fma_f32 v6, v18, v62, -v77
	v_mul_f32_e32 v61, v16, v61
	v_fma_f32 v4, v4, v56, -v79
	v_fma_f32 v11, v16, v60, -v80
	v_fma_f32 v0, v0, v40, -v83
	v_sub_f32_e32 v6, v3, v6
	v_fma_f32 v9, v12, v44, -v84
	v_fma_f32 v12, v28, v68, -v69
	v_fmac_f32_e32 v48, v7, v58
	v_fma_f32 v8, v8, v64, -v65
	v_mul_f32_e32 v21, v25, v53
	v_sub_f32_e32 v7, v2, v14
	v_fmac_f32_e32 v61, v17, v60
	v_fmac_f32_e32 v41, v13, v44
	v_sub_f32_e32 v11, v4, v11
	v_sub_f32_e32 v9, v0, v9
	v_sub_f32_e32 v12, v8, v12
	v_fma_f32 v5, v24, v52, -v21
	v_sub_f32_e32 v24, v7, v10
	v_sub_f32_e32 v17, v85, v86
	v_dual_mul_f32 v49, v18, v63 :: v_dual_sub_f32 v18, v57, v61
	s_delay_alu instid0(VALU_DEP_4) | instskip(SKIP_1) | instid1(VALU_DEP_4)
	v_sub_f32_e32 v5, v20, v5
	v_fma_f32 v4, v4, 2.0, -v11
	v_sub_f32_e32 v28, v9, v17
	v_fma_f32 v8, v8, 2.0, -v12
	v_fmac_f32_e32 v49, v19, v62
	v_sub_f32_e32 v19, v23, v41
	v_add_f32_e32 v29, v18, v12
	v_fma_f32 v0, v0, 2.0, -v9
	v_sub_f32_e32 v8, v4, v8
	v_fma_f32 v3, v3, 2.0, -v6
	v_add_f32_e32 v40, v19, v5
	v_sub_f32_e32 v16, v81, v82
	v_fma_f32 v5, v20, 2.0, -v5
	v_fma_f32 v4, v4, 2.0, -v8
	;; [unrolled: 1-line block ×3, first 2 shown]
	s_delay_alu instid0(VALU_DEP_4) | instskip(NEXT) | instid1(VALU_DEP_4)
	v_dual_fmamk_f32 v42, v29, 0x3f3504f3, v40 :: v_dual_sub_f32 v27, v11, v16
	v_sub_f32_e32 v5, v0, v5
	v_fma_f32 v22, v22, v50, -v51
	v_fma_f32 v26, v26, v54, -v55
	v_fma_f32 v16, v81, 2.0, -v16
	v_dual_fmac_f32 v42, 0x3f3504f3, v27 :: v_dual_sub_f32 v21, v48, v49
	v_fma_f32 v49, v0, 2.0, -v5
	v_sub_f32_e32 v1, v36, v1
	v_sub_f32_e32 v13, v22, v26
	v_add_f32_e32 v26, v15, v6
	v_fma_f32 v10, v74, 2.0, -v10
	v_fma_f32 v17, v85, 2.0, -v17
	;; [unrolled: 1-line block ×3, first 2 shown]
	s_delay_alu instid0(VALU_DEP_1) | instskip(SKIP_1) | instid1(VALU_DEP_2)
	v_sub_f32_e32 v44, v23, v3
	v_fma_f32 v20, v57, 2.0, -v18
	v_fma_f32 v23, v23, 2.0, -v44
	s_delay_alu instid0(VALU_DEP_2) | instskip(SKIP_1) | instid1(VALU_DEP_1)
	v_sub_f32_e32 v16, v20, v16
	v_sub_f32_e32 v14, v43, v47
	v_add_f32_e32 v25, v14, v13
	v_fma_f32 v6, v43, 2.0, -v14
	s_delay_alu instid0(VALU_DEP_1)
	v_dual_fmamk_f32 v36, v25, 0x3f3504f3, v26 :: v_dual_sub_f32 v3, v6, v10
	v_fma_f32 v10, v14, 2.0, -v25
	v_fma_f32 v14, v9, 2.0, -v28
	;; [unrolled: 1-line block ×5, first 2 shown]
	v_fmac_f32_e32 v36, 0x3f3504f3, v24
	v_fma_f32 v2, v2, 2.0, -v7
	v_fma_f32 v7, v7, 2.0, -v24
	v_fmamk_f32 v46, v9, 0xbf3504f3, v14
	v_fmamk_f32 v47, v11, 0xbf3504f3, v18
	v_fma_f32 v13, v22, 2.0, -v13
	v_fma_f32 v40, v40, 2.0, -v42
	;; [unrolled: 1-line block ×3, first 2 shown]
	v_fmac_f32_e32 v46, 0xbf3504f3, v11
	v_fmac_f32_e32 v47, 0x3f3504f3, v9
	v_sub_f32_e32 v41, v1, v21
	v_fma_f32 v21, v48, 2.0, -v21
	v_sub_f32_e32 v13, v2, v13
	s_delay_alu instid0(VALU_DEP_4) | instskip(NEXT) | instid1(VALU_DEP_4)
	v_fma_f32 v53, v18, 2.0, -v47
	v_fma_f32 v19, v1, 2.0, -v41
	v_fmamk_f32 v43, v24, 0x3f3504f3, v41
	v_fmamk_f32 v1, v42, 0x3f6c835e, v36
	s_delay_alu instid0(VALU_DEP_3) | instskip(SKIP_3) | instid1(VALU_DEP_4)
	v_fmamk_f32 v48, v7, 0xbf3504f3, v19
	v_fma_f32 v22, v37, 2.0, -v15
	v_fmamk_f32 v37, v27, 0x3f3504f3, v28
	v_fma_f32 v15, v15, 2.0, -v26
	v_dual_fmac_f32 v43, 0xbf3504f3, v25 :: v_dual_fmac_f32 v48, 0xbf3504f3, v10
	s_delay_alu instid0(VALU_DEP_4) | instskip(SKIP_1) | instid1(VALU_DEP_4)
	v_sub_f32_e32 v21, v22, v21
	v_sub_f32_e32 v25, v5, v16
	v_fmamk_f32 v45, v10, 0xbf3504f3, v15
	v_fma_f32 v26, v26, 2.0, -v36
	v_fma_f32 v54, v19, 2.0, -v48
	v_sub_f32_e32 v17, v12, v17
	v_add_f32_e32 v24, v21, v13
	v_fma_f32 v22, v22, 2.0, -v21
	v_fmac_f32_e32 v45, 0x3f3504f3, v7
	v_fmamk_f32 v9, v40, 0xbec3ef15, v26
	v_add_f32_e32 v27, v17, v8
	v_fma_f32 v8, v2, 2.0, -v13
	v_fma_f32 v12, v12, 2.0, -v17
	;; [unrolled: 1-line block ×3, first 2 shown]
	v_sub_f32_e32 v16, v22, v6
	v_sub_f32_e32 v20, v49, v4
	v_sub_f32_e32 v50, v23, v8
	s_delay_alu instid0(VALU_DEP_4) | instskip(NEXT) | instid1(VALU_DEP_4)
	v_dual_fmamk_f32 v4, v46, 0x3ec3ef15, v48 :: v_dual_sub_f32 v13, v12, v13
	v_fma_f32 v55, v22, 2.0, -v16
	s_delay_alu instid0(VALU_DEP_4) | instskip(NEXT) | instid1(VALU_DEP_4)
	v_add_f32_e32 v7, v16, v20
	v_fma_f32 v56, v23, 2.0, -v50
	v_fma_f32 v20, v49, 2.0, -v20
	v_sub_f32_e32 v6, v50, v13
	v_fmac_f32_e32 v37, 0xbf3504f3, v29
	v_fmac_f32_e32 v4, 0xbf6c835e, v47
	v_fma_f32 v41, v41, 2.0, -v43
	v_sub_f32_e32 v20, v56, v20
	s_delay_alu instid0(VALU_DEP_4) | instskip(SKIP_3) | instid1(VALU_DEP_4)
	v_dual_sub_f32 v29, v44, v3 :: v_dual_fmamk_f32 v0, v37, 0x3f6c835e, v43
	v_fma_f32 v28, v28, 2.0, -v37
	v_fmac_f32_e32 v1, 0x3ec3ef15, v37
	v_fma_f32 v37, v15, 2.0, -v45
	v_fma_f32 v44, v44, 2.0, -v29
	v_fmac_f32_e32 v0, 0xbec3ef15, v42
	v_fma_f32 v42, v14, 2.0, -v46
	v_fmamk_f32 v8, v28, 0xbec3ef15, v41
	v_fmamk_f32 v3, v27, 0x3f3504f3, v24
	v_fma_f32 v22, v12, 2.0, -v13
	s_delay_alu instid0(VALU_DEP_4)
	v_dual_fmamk_f32 v19, v53, 0xbf6c835e, v37 :: v_dual_fmamk_f32 v18, v42, 0xbf6c835e, v54
	v_fma_f32 v52, v17, 2.0, -v27
	v_fmac_f32_e32 v8, 0xbf6c835e, v40
	v_fma_f32 v51, v21, 2.0, -v24
	v_fmac_f32_e32 v9, 0x3f6c835e, v28
	v_fmac_f32_e32 v18, 0xbec3ef15, v53
	v_fma_f32 v21, v5, 2.0, -v25
	v_fmamk_f32 v2, v25, 0x3f3504f3, v29
	v_fmamk_f32 v5, v47, 0x3ec3ef15, v45
	;; [unrolled: 1-line block ×3, first 2 shown]
	v_fmac_f32_e32 v3, 0x3f3504f3, v25
	v_fmamk_f32 v10, v21, 0xbf3504f3, v44
	v_fmac_f32_e32 v2, 0xbf3504f3, v27
	v_fmac_f32_e32 v5, 0x3f6c835e, v46
	v_fma_f32 v13, v36, 2.0, -v1
	v_fma_f32 v12, v43, 2.0, -v0
	v_fmac_f32_e32 v11, 0x3f3504f3, v21
	v_dual_fmac_f32 v10, 0xbf3504f3, v52 :: v_dual_sub_f32 v21, v55, v22
	v_fmac_f32_e32 v19, 0x3ec3ef15, v42
	v_fma_f32 v15, v24, 2.0, -v3
	v_fma_f32 v17, v16, 2.0, -v7
	;; [unrolled: 1-line block ×10, first 2 shown]
	ds_store_2addr_b64 v33, v[12:13], v[20:21] offset0:154 offset1:176
	ds_store_2addr_b64 v70, v[8:9], v[6:7] offset0:114 offset1:136
	v_fma_f32 v7, v37, 2.0, -v19
	v_fma_f32 v6, v54, 2.0, -v18
	;; [unrolled: 1-line block ×4, first 2 shown]
	ds_store_2addr_b64 v71, v[4:5], v[2:3] offset0:30 offset1:52
	ds_store_2addr_b64 v33, v[24:25], v[16:17] offset0:66 offset1:88
	ds_store_2addr_b64 v33, v[22:23], v[14:15] offset0:110 offset1:132
	ds_store_2addr_b64 v33, v[18:19], v[10:11] offset0:198 offset1:220
	ds_store_2addr_b64 v33, v[6:7], v[26:27] offset0:22 offset1:44
	ds_store_b64 v39, v[28:29]
	ds_store_b64 v33, v[0:1] offset:2640
.LBB0_29:
	s_wait_alu 0xfffe
	s_or_b32 exec_lo, exec_lo, s1
	global_wb scope:SCOPE_SE
	s_wait_dscnt 0x0
	s_barrier_signal -1
	s_barrier_wait -1
	global_inv scope:SCOPE_SE
	s_and_saveexec_b32 s0, vcc_lo
	s_cbranch_execz .LBB0_31
; %bb.30:
	v_mul_lo_u32 v0, s3, v34
	v_mul_lo_u32 v1, s2, v35
	v_mad_co_u64_u32 v[4:5], null, s2, v34, 0
	v_dual_mov_b32 v33, 0 :: v_dual_add_nc_u32 v10, 32, v32
	v_lshl_add_u32 v24, v32, 3, v38
	v_lshlrev_b64_e32 v[8:9], 3, v[30:31]
	s_delay_alu instid0(VALU_DEP_3)
	v_dual_mov_b32 v11, v33 :: v_dual_add_nc_u32 v12, 64, v32
	v_add3_u32 v5, v5, v1, v0
	ds_load_2addr_b64 v[0:3], v24 offset1:32
	v_lshlrev_b64_e32 v[16:17], 3, v[32:33]
	v_mov_b32_e32 v13, v33
	v_lshlrev_b64_e32 v[10:11], 3, v[10:11]
	v_lshlrev_b64_e32 v[14:15], 3, v[4:5]
	ds_load_2addr_b64 v[4:7], v24 offset0:64 offset1:96
	v_mov_b32_e32 v19, v33
	v_add_nc_u32_e32 v25, 0x800, v24
	v_add_nc_u32_e32 v18, 0xa0, v32
	v_add_co_u32 v14, vcc_lo, s6, v14
	s_wait_alu 0xfffd
	v_add_co_ci_u32_e32 v15, vcc_lo, s7, v15, vcc_lo
	s_delay_alu instid0(VALU_DEP_2) | instskip(SKIP_1) | instid1(VALU_DEP_2)
	v_add_co_u32 v28, vcc_lo, v14, v8
	s_wait_alu 0xfffd
	v_add_co_ci_u32_e32 v29, vcc_lo, v15, v9, vcc_lo
	v_dual_mov_b32 v15, v33 :: v_dual_add_nc_u32 v14, 0x60, v32
	v_lshlrev_b64_e32 v[8:9], 3, v[12:13]
	v_add_co_u32 v12, vcc_lo, v28, v16
	v_add_nc_u32_e32 v16, 0x80, v32
	s_wait_alu 0xfffd
	v_add_co_ci_u32_e32 v13, vcc_lo, v29, v17, vcc_lo
	v_add_co_u32 v10, vcc_lo, v28, v10
	v_lshlrev_b64_e32 v[14:15], 3, v[14:15]
	s_wait_alu 0xfffd
	v_add_co_ci_u32_e32 v11, vcc_lo, v29, v11, vcc_lo
	v_add_co_u32 v8, vcc_lo, v28, v8
	s_wait_alu 0xfffd
	v_add_co_ci_u32_e32 v9, vcc_lo, v29, v9, vcc_lo
	v_mov_b32_e32 v17, v33
	v_add_co_u32 v14, vcc_lo, v28, v14
	s_wait_alu 0xfffd
	v_add_co_ci_u32_e32 v15, vcc_lo, v29, v15, vcc_lo
	s_wait_dscnt 0x1
	s_clause 0x1
	global_store_b64 v[12:13], v[0:1], off
	global_store_b64 v[10:11], v[2:3], off
	s_wait_dscnt 0x0
	s_clause 0x1
	global_store_b64 v[8:9], v[4:5], off
	global_store_b64 v[14:15], v[6:7], off
	v_lshlrev_b64_e32 v[4:5], 3, v[16:17]
	v_dual_mov_b32 v9, v33 :: v_dual_add_nc_u32 v8, 0xc0, v32
	v_add_nc_u32_e32 v10, 0xe0, v32
	v_lshlrev_b64_e32 v[6:7], 3, v[18:19]
	v_mov_b32_e32 v11, v33
	v_add_co_u32 v12, vcc_lo, v28, v4
	v_lshlrev_b64_e32 v[8:9], 3, v[8:9]
	s_wait_alu 0xfffd
	v_add_co_ci_u32_e32 v13, vcc_lo, v29, v5, vcc_lo
	v_add_co_u32 v14, vcc_lo, v28, v6
	s_wait_alu 0xfffd
	v_add_co_ci_u32_e32 v15, vcc_lo, v29, v7, vcc_lo
	v_add_co_u32 v16, vcc_lo, v28, v8
	s_wait_alu 0xfffd
	v_add_co_ci_u32_e32 v17, vcc_lo, v29, v9, vcc_lo
	v_lshlrev_b64_e32 v[8:9], 3, v[10:11]
	v_add_nc_u32_e32 v10, 0x100, v32
	ds_load_2addr_b64 v[0:3], v24 offset0:128 offset1:160
	ds_load_2addr_b64 v[4:7], v24 offset0:192 offset1:224
	v_add_nc_u32_e32 v18, 0x120, v32
	v_add_nc_u32_e32 v32, 0x140, v32
	v_add_co_u32 v20, vcc_lo, v28, v8
	s_wait_alu 0xfffd
	v_add_co_ci_u32_e32 v21, vcc_lo, v29, v9, vcc_lo
	v_lshlrev_b64_e32 v[22:23], 3, v[10:11]
	ds_load_2addr_b64 v[8:11], v25 offset1:32
	ds_load_b64 v[24:25], v24 offset:2560
	v_lshlrev_b64_e32 v[18:19], 3, v[18:19]
	v_lshlrev_b64_e32 v[26:27], 3, v[32:33]
	v_add_co_u32 v22, vcc_lo, v28, v22
	s_wait_alu 0xfffd
	v_add_co_ci_u32_e32 v23, vcc_lo, v29, v23, vcc_lo
	s_delay_alu instid0(VALU_DEP_4)
	v_add_co_u32 v18, vcc_lo, v28, v18
	s_wait_alu 0xfffd
	v_add_co_ci_u32_e32 v19, vcc_lo, v29, v19, vcc_lo
	v_add_co_u32 v26, vcc_lo, v28, v26
	s_wait_alu 0xfffd
	v_add_co_ci_u32_e32 v27, vcc_lo, v29, v27, vcc_lo
	s_wait_dscnt 0x3
	s_clause 0x1
	global_store_b64 v[12:13], v[0:1], off
	global_store_b64 v[14:15], v[2:3], off
	s_wait_dscnt 0x2
	s_clause 0x1
	global_store_b64 v[16:17], v[4:5], off
	global_store_b64 v[20:21], v[6:7], off
	;; [unrolled: 4-line block ×3, first 2 shown]
	s_wait_dscnt 0x0
	global_store_b64 v[26:27], v[24:25], off
.LBB0_31:
	s_nop 0
	s_sendmsg sendmsg(MSG_DEALLOC_VGPRS)
	s_endpgm
	.section	.rodata,"a",@progbits
	.p2align	6, 0x0
	.amdhsa_kernel fft_rtc_fwd_len352_factors_11_2_16_wgs_64_tpt_32_sp_op_CI_CI_unitstride_sbrr_C2R_dirReg
		.amdhsa_group_segment_fixed_size 0
		.amdhsa_private_segment_fixed_size 0
		.amdhsa_kernarg_size 104
		.amdhsa_user_sgpr_count 2
		.amdhsa_user_sgpr_dispatch_ptr 0
		.amdhsa_user_sgpr_queue_ptr 0
		.amdhsa_user_sgpr_kernarg_segment_ptr 1
		.amdhsa_user_sgpr_dispatch_id 0
		.amdhsa_user_sgpr_private_segment_size 0
		.amdhsa_wavefront_size32 1
		.amdhsa_uses_dynamic_stack 0
		.amdhsa_enable_private_segment 0
		.amdhsa_system_sgpr_workgroup_id_x 1
		.amdhsa_system_sgpr_workgroup_id_y 0
		.amdhsa_system_sgpr_workgroup_id_z 0
		.amdhsa_system_sgpr_workgroup_info 0
		.amdhsa_system_vgpr_workitem_id 0
		.amdhsa_next_free_vgpr 87
		.amdhsa_next_free_sgpr 39
		.amdhsa_reserve_vcc 1
		.amdhsa_float_round_mode_32 0
		.amdhsa_float_round_mode_16_64 0
		.amdhsa_float_denorm_mode_32 3
		.amdhsa_float_denorm_mode_16_64 3
		.amdhsa_fp16_overflow 0
		.amdhsa_workgroup_processor_mode 1
		.amdhsa_memory_ordered 1
		.amdhsa_forward_progress 0
		.amdhsa_round_robin_scheduling 0
		.amdhsa_exception_fp_ieee_invalid_op 0
		.amdhsa_exception_fp_denorm_src 0
		.amdhsa_exception_fp_ieee_div_zero 0
		.amdhsa_exception_fp_ieee_overflow 0
		.amdhsa_exception_fp_ieee_underflow 0
		.amdhsa_exception_fp_ieee_inexact 0
		.amdhsa_exception_int_div_zero 0
	.end_amdhsa_kernel
	.text
.Lfunc_end0:
	.size	fft_rtc_fwd_len352_factors_11_2_16_wgs_64_tpt_32_sp_op_CI_CI_unitstride_sbrr_C2R_dirReg, .Lfunc_end0-fft_rtc_fwd_len352_factors_11_2_16_wgs_64_tpt_32_sp_op_CI_CI_unitstride_sbrr_C2R_dirReg
                                        ; -- End function
	.section	.AMDGPU.csdata,"",@progbits
; Kernel info:
; codeLenInByte = 9088
; NumSgprs: 41
; NumVgprs: 87
; ScratchSize: 0
; MemoryBound: 0
; FloatMode: 240
; IeeeMode: 1
; LDSByteSize: 0 bytes/workgroup (compile time only)
; SGPRBlocks: 5
; VGPRBlocks: 10
; NumSGPRsForWavesPerEU: 41
; NumVGPRsForWavesPerEU: 87
; Occupancy: 16
; WaveLimiterHint : 1
; COMPUTE_PGM_RSRC2:SCRATCH_EN: 0
; COMPUTE_PGM_RSRC2:USER_SGPR: 2
; COMPUTE_PGM_RSRC2:TRAP_HANDLER: 0
; COMPUTE_PGM_RSRC2:TGID_X_EN: 1
; COMPUTE_PGM_RSRC2:TGID_Y_EN: 0
; COMPUTE_PGM_RSRC2:TGID_Z_EN: 0
; COMPUTE_PGM_RSRC2:TIDIG_COMP_CNT: 0
	.text
	.p2alignl 7, 3214868480
	.fill 96, 4, 3214868480
	.type	__hip_cuid_3f5ad1211c5a8280,@object ; @__hip_cuid_3f5ad1211c5a8280
	.section	.bss,"aw",@nobits
	.globl	__hip_cuid_3f5ad1211c5a8280
__hip_cuid_3f5ad1211c5a8280:
	.byte	0                               ; 0x0
	.size	__hip_cuid_3f5ad1211c5a8280, 1

	.ident	"AMD clang version 19.0.0git (https://github.com/RadeonOpenCompute/llvm-project roc-6.4.0 25133 c7fe45cf4b819c5991fe208aaa96edf142730f1d)"
	.section	".note.GNU-stack","",@progbits
	.addrsig
	.addrsig_sym __hip_cuid_3f5ad1211c5a8280
	.amdgpu_metadata
---
amdhsa.kernels:
  - .args:
      - .actual_access:  read_only
        .address_space:  global
        .offset:         0
        .size:           8
        .value_kind:     global_buffer
      - .offset:         8
        .size:           8
        .value_kind:     by_value
      - .actual_access:  read_only
        .address_space:  global
        .offset:         16
        .size:           8
        .value_kind:     global_buffer
      - .actual_access:  read_only
        .address_space:  global
        .offset:         24
        .size:           8
        .value_kind:     global_buffer
      - .actual_access:  read_only
        .address_space:  global
        .offset:         32
        .size:           8
        .value_kind:     global_buffer
      - .offset:         40
        .size:           8
        .value_kind:     by_value
      - .actual_access:  read_only
        .address_space:  global
        .offset:         48
        .size:           8
        .value_kind:     global_buffer
      - .actual_access:  read_only
        .address_space:  global
        .offset:         56
        .size:           8
        .value_kind:     global_buffer
      - .offset:         64
        .size:           4
        .value_kind:     by_value
      - .actual_access:  read_only
        .address_space:  global
        .offset:         72
        .size:           8
        .value_kind:     global_buffer
      - .actual_access:  read_only
        .address_space:  global
        .offset:         80
        .size:           8
        .value_kind:     global_buffer
      - .actual_access:  read_only
        .address_space:  global
        .offset:         88
        .size:           8
        .value_kind:     global_buffer
      - .actual_access:  write_only
        .address_space:  global
        .offset:         96
        .size:           8
        .value_kind:     global_buffer
    .group_segment_fixed_size: 0
    .kernarg_segment_align: 8
    .kernarg_segment_size: 104
    .language:       OpenCL C
    .language_version:
      - 2
      - 0
    .max_flat_workgroup_size: 64
    .name:           fft_rtc_fwd_len352_factors_11_2_16_wgs_64_tpt_32_sp_op_CI_CI_unitstride_sbrr_C2R_dirReg
    .private_segment_fixed_size: 0
    .sgpr_count:     41
    .sgpr_spill_count: 0
    .symbol:         fft_rtc_fwd_len352_factors_11_2_16_wgs_64_tpt_32_sp_op_CI_CI_unitstride_sbrr_C2R_dirReg.kd
    .uniform_work_group_size: 1
    .uses_dynamic_stack: false
    .vgpr_count:     87
    .vgpr_spill_count: 0
    .wavefront_size: 32
    .workgroup_processor_mode: 1
amdhsa.target:   amdgcn-amd-amdhsa--gfx1201
amdhsa.version:
  - 1
  - 2
...

	.end_amdgpu_metadata
